;; amdgpu-corpus repo=ROCm/rocFFT kind=compiled arch=gfx1030 opt=O3
	.text
	.amdgcn_target "amdgcn-amd-amdhsa--gfx1030"
	.amdhsa_code_object_version 6
	.protected	fft_rtc_fwd_len121_factors_11_11_wgs_121_tpt_11_half_op_CI_CI_sbcc_twdbase6_3step_dirReg_intrinsicReadWrite ; -- Begin function fft_rtc_fwd_len121_factors_11_11_wgs_121_tpt_11_half_op_CI_CI_sbcc_twdbase6_3step_dirReg_intrinsicReadWrite
	.globl	fft_rtc_fwd_len121_factors_11_11_wgs_121_tpt_11_half_op_CI_CI_sbcc_twdbase6_3step_dirReg_intrinsicReadWrite
	.p2align	8
	.type	fft_rtc_fwd_len121_factors_11_11_wgs_121_tpt_11_half_op_CI_CI_sbcc_twdbase6_3step_dirReg_intrinsicReadWrite,@function
fft_rtc_fwd_len121_factors_11_11_wgs_121_tpt_11_half_op_CI_CI_sbcc_twdbase6_3step_dirReg_intrinsicReadWrite: ; @fft_rtc_fwd_len121_factors_11_11_wgs_121_tpt_11_half_op_CI_CI_sbcc_twdbase6_3step_dirReg_intrinsicReadWrite
; %bb.0:
	s_clause 0x3
	s_load_dwordx2 s[24:25], s[4:5], 0x0
	s_load_dwordx8 s[8:15], s[4:5], 0x8
	s_load_dwordx4 s[16:19], s[4:5], 0x60
	s_load_dwordx2 s[4:5], s[4:5], 0x28
	s_mov_b32 s1, exec_lo
	v_cmpx_gt_u32_e32 0xc0, v0
	s_cbranch_execz .LBB0_3
; %bb.1:
	v_lshlrev_b32_e32 v5, 2, v0
	v_add_co_u32 v1, s0, 0xffffff87, v0
	v_add_co_ci_u32_e64 v2, null, 0, -1, s0
	s_waitcnt lgkmcnt(0)
	v_add_co_u32 v3, s0, s8, v5
	v_add_co_ci_u32_e64 v4, null, s9, 0, s0
	v_add3_u32 v5, v5, 0, 0x14cc
	s_mov_b32 s2, 0
	.p2align	6
.LBB0_2:                                ; =>This Inner Loop Header: Depth=1
	global_load_dword v6, v[3:4], off
	v_add_co_u32 v1, vcc_lo, 0x79, v1
	v_add_co_ci_u32_e32 v2, vcc_lo, 0, v2, vcc_lo
	v_add_co_u32 v3, vcc_lo, 0x1e4, v3
	v_add_co_ci_u32_e32 v4, vcc_lo, 0, v4, vcc_lo
	v_cmp_lt_u64_e64 s0, 0x46, v[1:2]
	s_or_b32 s2, s0, s2
	s_waitcnt vmcnt(0)
	ds_write_b32 v5, v6
	v_add_nc_u32_e32 v5, 0x1e4, v5
	s_andn2_b32 exec_lo, exec_lo, s2
	s_cbranch_execnz .LBB0_2
.LBB0_3:
	s_or_b32 exec_lo, exec_lo, s1
	s_waitcnt lgkmcnt(0)
	s_load_dwordx2 s[8:9], s[12:13], 0x8
	s_mov_b64 s[28:29], 0
	s_waitcnt lgkmcnt(0)
	s_add_u32 s0, s8, -1
	s_addc_u32 s1, s9, -1
	s_add_u32 s2, 0, 0x5d161400
	s_addc_u32 s3, 0, 0x54
	s_mul_hi_u32 s20, s2, -11
	s_add_i32 s3, s3, 0x1745d120
	s_sub_i32 s20, s20, s2
	s_mul_i32 s22, s3, -11
	s_mul_i32 s7, s2, -11
	s_add_i32 s20, s20, s22
	s_mul_hi_u32 s21, s2, s7
	s_mul_i32 s26, s2, s20
	s_mul_hi_u32 s22, s2, s20
	s_mul_hi_u32 s23, s3, s7
	s_mul_i32 s7, s3, s7
	s_add_u32 s21, s21, s26
	s_addc_u32 s22, 0, s22
	s_mul_hi_u32 s27, s3, s20
	s_add_u32 s7, s21, s7
	s_mul_i32 s20, s3, s20
	s_addc_u32 s7, s22, s23
	s_addc_u32 s21, s27, 0
	s_add_u32 s7, s7, s20
	v_add_co_u32 v1, s2, s2, s7
	s_addc_u32 s7, 0, s21
	s_cmp_lg_u32 s2, 0
	s_addc_u32 s2, s3, s7
	v_readfirstlane_b32 s3, v1
	s_mul_i32 s20, s0, s2
	s_mul_hi_u32 s7, s0, s2
	s_mul_hi_u32 s21, s1, s2
	s_mul_i32 s2, s1, s2
	s_mul_hi_u32 s22, s0, s3
	s_mul_hi_u32 s23, s1, s3
	s_mul_i32 s3, s1, s3
	s_add_u32 s20, s22, s20
	s_addc_u32 s7, 0, s7
	s_add_u32 s3, s20, s3
	s_addc_u32 s3, s7, s23
	s_addc_u32 s7, s21, 0
	s_add_u32 s2, s3, s2
	s_addc_u32 s3, 0, s7
	s_mul_i32 s20, s2, 11
	s_add_u32 s7, s2, 1
	v_sub_co_u32 v1, s0, s0, s20
	s_mul_hi_u32 s20, s2, 11
	s_addc_u32 s21, s3, 0
	s_mul_i32 s22, s3, 11
	v_sub_co_u32 v2, s23, v1, 11
	s_add_u32 s26, s2, 2
	s_addc_u32 s27, s3, 0
	s_add_i32 s20, s20, s22
	s_cmp_lg_u32 s0, 0
	v_readfirstlane_b32 s0, v2
	s_subb_u32 s1, s1, s20
	s_cmp_lg_u32 s23, 0
	s_subb_u32 s20, s1, 0
	s_cmp_gt_u32 s0, 10
	s_cselect_b32 s0, -1, 0
	s_cmp_eq_u32 s20, 0
	v_readfirstlane_b32 s20, v1
	s_cselect_b32 s0, s0, -1
	s_cmp_lg_u32 s0, 0
	s_cselect_b32 s0, s26, s7
	s_cselect_b32 s21, s27, s21
	s_cmp_gt_u32 s20, 10
	s_cselect_b32 s7, -1, 0
	s_cmp_eq_u32 s1, 0
	s_cselect_b32 s1, s7, -1
	s_mov_b32 s7, 0
	s_cmp_lg_u32 s1, 0
	s_cselect_b32 s0, s0, s2
	s_cselect_b32 s1, s21, s3
	s_add_u32 s26, s0, 1
	s_addc_u32 s27, s1, 0
	v_cmp_lt_u64_e64 s0, s[6:7], s[26:27]
	s_and_b32 vcc_lo, exec_lo, s0
	s_cbranch_vccnz .LBB0_5
; %bb.4:
	v_cvt_f32_u32_e32 v1, s26
	s_sub_i32 s1, 0, s26
	s_mov_b32 s29, s7
	v_rcp_iflag_f32_e32 v1, v1
	v_mul_f32_e32 v1, 0x4f7ffffe, v1
	v_cvt_u32_f32_e32 v1, v1
	v_readfirstlane_b32 s0, v1
	s_mul_i32 s1, s1, s0
	s_mul_hi_u32 s1, s0, s1
	s_add_i32 s0, s0, s1
	s_mul_hi_u32 s0, s6, s0
	s_mul_i32 s1, s0, s26
	s_add_i32 s2, s0, 1
	s_sub_i32 s1, s6, s1
	s_sub_i32 s3, s1, s26
	s_cmp_ge_u32 s1, s26
	s_cselect_b32 s0, s2, s0
	s_cselect_b32 s1, s3, s1
	s_add_i32 s2, s0, 1
	s_cmp_ge_u32 s1, s26
	s_cselect_b32 s28, s2, s0
.LBB0_5:
	s_load_dwordx4 s[20:23], s[14:15], 0x0
	s_load_dwordx4 s[0:3], s[4:5], 0x0
	s_waitcnt lgkmcnt(0)
	s_mul_i32 s1, s28, s27
	s_mul_hi_u32 s21, s28, s26
	s_mul_i32 s30, s28, s26
	s_add_i32 s21, s21, s1
	s_sub_u32 s33, s6, s30
	v_cmp_lt_u64_e64 s31, s[10:11], 3
	s_subb_u32 s1, 0, s21
	s_mul_hi_u32 s21, s33, 11
	s_mul_i32 s1, s1, 11
	s_mul_i32 s33, s33, 11
	s_add_i32 s21, s21, s1
	s_and_b32 vcc_lo, exec_lo, s31
	s_mul_i32 s30, s22, s21
	s_mul_hi_u32 s31, s22, s33
	s_mul_i32 s34, s2, s21
	s_mul_hi_u32 s35, s2, s33
	s_mul_i32 s23, s23, s33
	s_mul_i32 s3, s3, s33
	s_add_i32 s30, s31, s30
	s_add_i32 s31, s35, s34
	s_mul_i32 s1, s22, s33
	s_add_i32 s23, s30, s23
	s_add_i32 s44, s31, s3
	s_mul_i32 s3, s2, s33
	s_cbranch_vccnz .LBB0_15
; %bb.6:
	s_add_u32 s30, s4, 16
	s_addc_u32 s31, s5, 0
	s_add_u32 s34, s14, 16
	s_addc_u32 s35, s15, 0
	;; [unrolled: 2-line block ×3, first 2 shown]
	s_mov_b64 s[36:37], 2
	s_mov_b32 s38, 0
.LBB0_7:                                ; =>This Inner Loop Header: Depth=1
	s_load_dwordx2 s[40:41], s[12:13], 0x0
	s_waitcnt lgkmcnt(0)
	s_or_b64 s[42:43], s[28:29], s[40:41]
	s_mov_b32 s39, s43
                                        ; implicit-def: $sgpr42_sgpr43
	s_cmp_lg_u64 s[38:39], 0
	s_mov_b32 s39, -1
	s_cbranch_scc0 .LBB0_9
; %bb.8:                                ;   in Loop: Header=BB0_7 Depth=1
	v_cvt_f32_u32_e32 v1, s40
	v_cvt_f32_u32_e32 v2, s41
	s_sub_u32 s43, 0, s40
	s_subb_u32 s45, 0, s41
	v_fmac_f32_e32 v1, 0x4f800000, v2
	v_rcp_f32_e32 v1, v1
	v_mul_f32_e32 v1, 0x5f7ffffc, v1
	v_mul_f32_e32 v2, 0x2f800000, v1
	v_trunc_f32_e32 v2, v2
	v_fmac_f32_e32 v1, 0xcf800000, v2
	v_cvt_u32_f32_e32 v2, v2
	v_cvt_u32_f32_e32 v1, v1
	v_readfirstlane_b32 s39, v2
	v_readfirstlane_b32 s42, v1
	s_mul_i32 s46, s43, s39
	s_mul_hi_u32 s48, s43, s42
	s_mul_i32 s47, s45, s42
	s_add_i32 s46, s48, s46
	s_mul_i32 s49, s43, s42
	s_add_i32 s46, s46, s47
	s_mul_hi_u32 s48, s42, s49
	s_mul_hi_u32 s50, s39, s49
	s_mul_i32 s47, s39, s49
	s_mul_hi_u32 s49, s42, s46
	s_mul_i32 s42, s42, s46
	s_mul_hi_u32 s51, s39, s46
	s_add_u32 s42, s48, s42
	s_addc_u32 s48, 0, s49
	s_add_u32 s42, s42, s47
	s_mul_i32 s46, s39, s46
	s_addc_u32 s42, s48, s50
	s_addc_u32 s47, s51, 0
	s_add_u32 s42, s42, s46
	s_addc_u32 s46, 0, s47
	v_add_co_u32 v1, s42, v1, s42
	s_cmp_lg_u32 s42, 0
	s_addc_u32 s39, s39, s46
	v_readfirstlane_b32 s42, v1
	s_mul_i32 s46, s43, s39
	s_mul_hi_u32 s47, s43, s42
	s_mul_i32 s45, s45, s42
	s_add_i32 s46, s47, s46
	s_mul_i32 s43, s43, s42
	s_add_i32 s46, s46, s45
	s_mul_hi_u32 s47, s39, s43
	s_mul_i32 s48, s39, s43
	s_mul_hi_u32 s43, s42, s43
	s_mul_hi_u32 s49, s42, s46
	s_mul_i32 s42, s42, s46
	s_mul_hi_u32 s45, s39, s46
	s_add_u32 s42, s43, s42
	s_addc_u32 s43, 0, s49
	s_add_u32 s42, s42, s48
	s_mul_i32 s46, s39, s46
	s_addc_u32 s42, s43, s47
	s_addc_u32 s43, s45, 0
	s_add_u32 s42, s42, s46
	s_addc_u32 s43, 0, s43
	v_add_co_u32 v1, s42, v1, s42
	s_cmp_lg_u32 s42, 0
	s_addc_u32 s39, s39, s43
	v_readfirstlane_b32 s42, v1
	s_mul_i32 s45, s28, s39
	s_mul_hi_u32 s43, s28, s39
	s_mul_hi_u32 s46, s29, s39
	s_mul_i32 s39, s29, s39
	s_mul_hi_u32 s47, s28, s42
	s_mul_hi_u32 s48, s29, s42
	s_mul_i32 s42, s29, s42
	s_add_u32 s45, s47, s45
	s_addc_u32 s43, 0, s43
	s_add_u32 s42, s45, s42
	s_addc_u32 s42, s43, s48
	s_addc_u32 s43, s46, 0
	s_add_u32 s42, s42, s39
	s_addc_u32 s43, 0, s43
	s_mul_hi_u32 s39, s40, s42
	s_mul_i32 s46, s40, s43
	s_mul_i32 s47, s40, s42
	s_add_i32 s39, s39, s46
	v_sub_co_u32 v1, s46, s28, s47
	s_mul_i32 s45, s41, s42
	s_add_i32 s39, s39, s45
	v_sub_co_u32 v2, s47, v1, s40
	s_sub_i32 s45, s29, s39
	s_cmp_lg_u32 s46, 0
	s_subb_u32 s45, s45, s41
	s_cmp_lg_u32 s47, 0
	v_readfirstlane_b32 s47, v2
	s_subb_u32 s45, s45, 0
	s_cmp_ge_u32 s45, s41
	s_cselect_b32 s48, -1, 0
	s_cmp_ge_u32 s47, s40
	s_cselect_b32 s47, -1, 0
	s_cmp_eq_u32 s45, s41
	s_cselect_b32 s45, s47, s48
	s_add_u32 s47, s42, 1
	s_addc_u32 s48, s43, 0
	s_add_u32 s49, s42, 2
	s_addc_u32 s50, s43, 0
	s_cmp_lg_u32 s45, 0
	s_cselect_b32 s45, s49, s47
	s_cselect_b32 s47, s50, s48
	s_cmp_lg_u32 s46, 0
	v_readfirstlane_b32 s46, v1
	s_subb_u32 s39, s29, s39
	s_cmp_ge_u32 s39, s41
	s_cselect_b32 s48, -1, 0
	s_cmp_ge_u32 s46, s40
	s_cselect_b32 s46, -1, 0
	s_cmp_eq_u32 s39, s41
	s_cselect_b32 s39, s46, s48
	s_cmp_lg_u32 s39, 0
	s_mov_b32 s39, 0
	s_cselect_b32 s43, s47, s43
	s_cselect_b32 s42, s45, s42
.LBB0_9:                                ;   in Loop: Header=BB0_7 Depth=1
	s_andn2_b32 vcc_lo, exec_lo, s39
	s_cbranch_vccnz .LBB0_11
; %bb.10:                               ;   in Loop: Header=BB0_7 Depth=1
	v_cvt_f32_u32_e32 v1, s40
	s_sub_i32 s42, 0, s40
	v_rcp_iflag_f32_e32 v1, v1
	v_mul_f32_e32 v1, 0x4f7ffffe, v1
	v_cvt_u32_f32_e32 v1, v1
	v_readfirstlane_b32 s39, v1
	s_mul_i32 s42, s42, s39
	s_mul_hi_u32 s42, s39, s42
	s_add_i32 s39, s39, s42
	s_mul_hi_u32 s39, s28, s39
	s_mul_i32 s42, s39, s40
	s_add_i32 s43, s39, 1
	s_sub_i32 s42, s28, s42
	s_sub_i32 s45, s42, s40
	s_cmp_ge_u32 s42, s40
	s_cselect_b32 s39, s43, s39
	s_cselect_b32 s42, s45, s42
	s_add_i32 s43, s39, 1
	s_cmp_ge_u32 s42, s40
	s_cselect_b32 s42, s43, s39
	s_mov_b32 s43, s38
.LBB0_11:                               ;   in Loop: Header=BB0_7 Depth=1
	s_load_dwordx2 s[46:47], s[34:35], 0x0
	s_load_dwordx2 s[48:49], s[30:31], 0x0
	s_mul_i32 s27, s40, s27
	s_mul_hi_u32 s39, s40, s26
	s_mul_i32 s45, s41, s26
	s_mul_i32 s41, s42, s41
	s_mul_hi_u32 s50, s42, s40
	s_mul_i32 s51, s43, s40
	s_add_i32 s27, s39, s27
	s_add_i32 s39, s50, s41
	s_mul_i32 s52, s42, s40
	s_add_i32 s27, s27, s45
	s_add_i32 s39, s39, s51
	s_sub_u32 s28, s28, s52
	s_subb_u32 s29, s29, s39
	s_mul_i32 s26, s40, s26
	s_waitcnt lgkmcnt(0)
	s_mul_i32 s39, s46, s29
	s_mul_hi_u32 s41, s46, s28
	s_mul_i32 s45, s47, s28
	s_add_i32 s39, s41, s39
	s_mul_i32 s46, s46, s28
	s_mul_i32 s29, s48, s29
	s_mul_hi_u32 s41, s48, s28
	s_add_i32 s39, s39, s45
	s_add_u32 s1, s46, s1
	s_addc_u32 s23, s39, s23
	s_add_i32 s29, s41, s29
	s_mul_i32 s39, s49, s28
	s_mul_i32 s28, s48, s28
	s_add_i32 s29, s29, s39
	s_add_u32 s3, s28, s3
	s_addc_u32 s44, s29, s44
	s_add_u32 s36, s36, 1
	s_addc_u32 s37, s37, 0
	s_add_u32 s30, s30, 8
	v_cmp_ge_u64_e64 s28, s[36:37], s[10:11]
	s_addc_u32 s31, s31, 0
	s_add_u32 s34, s34, 8
	s_addc_u32 s35, s35, 0
	s_add_u32 s12, s12, 8
	s_addc_u32 s13, s13, 0
	s_and_b32 vcc_lo, exec_lo, s28
	s_cbranch_vccnz .LBB0_13
; %bb.12:                               ;   in Loop: Header=BB0_7 Depth=1
	s_mov_b64 s[28:29], s[42:43]
	s_branch .LBB0_7
.LBB0_13:
	v_cmp_lt_u64_e64 s7, s[6:7], s[26:27]
	s_mov_b64 s[28:29], 0
	s_and_b32 vcc_lo, exec_lo, s7
	s_cbranch_vccnz .LBB0_15
; %bb.14:
	v_cvt_f32_u32_e32 v1, s26
	s_sub_i32 s12, 0, s26
	v_rcp_iflag_f32_e32 v1, v1
	v_mul_f32_e32 v1, 0x4f7ffffe, v1
	v_cvt_u32_f32_e32 v1, v1
	v_readfirstlane_b32 s7, v1
	s_mul_i32 s12, s12, s7
	s_mul_hi_u32 s12, s7, s12
	s_add_i32 s7, s7, s12
	s_mul_hi_u32 s7, s6, s7
	s_mul_i32 s12, s7, s26
	s_sub_i32 s6, s6, s12
	s_add_i32 s12, s7, 1
	s_sub_i32 s13, s6, s26
	s_cmp_ge_u32 s6, s26
	s_cselect_b32 s7, s12, s7
	s_cselect_b32 s6, s13, s6
	s_add_i32 s12, s7, 1
	s_cmp_ge_u32 s6, s26
	s_cselect_b32 s28, s12, s7
.LBB0_15:
	s_lshl_b64 s[6:7], s[10:11], 3
	v_mul_hi_u32 v4, 0x1745d175, v0
	s_add_u32 s10, s14, s6
	s_addc_u32 s11, s15, s7
	v_mov_b32_e32 v23, 0xbb47
	s_load_dword s10, s[10:11], 0x0
	v_mov_b32_e32 v28, 0xbbeb
	v_mov_b32_e32 v33, 0xba0c
	v_mul_u32_u24_e32 v1, 11, v4
	v_mul_lo_u32 v5, s20, v4
	v_sub_nc_u32_e32 v3, v0, v1
	v_mul_hi_u32 v0, 0x21d9eae, v0
	v_mul_lo_u32 v6, s22, v3
	s_waitcnt lgkmcnt(0)
	s_mul_i32 s10, s10, s28
	s_add_i32 s10, s10, s1
	s_add_u32 s4, s4, s6
	s_addc_u32 s5, s5, s7
	s_mov_b32 s7, 0x31014000
	s_load_dword s1, s[4:5], 0x0
	s_mov_b32 s6, -2
	s_waitcnt lgkmcnt(0)
	s_mul_i32 s1, s1, s28
	s_add_i32 s1, s1, s3
	v_add_co_u32 v1, s3, s33, v3
	v_add_co_ci_u32_e64 v2, null, s21, 0, s3
	s_add_u32 s4, s33, 11
	s_addc_u32 s5, s21, 0
	s_lshl_b32 s1, s1, 2
	v_cmp_le_u64_e64 s3, s[4:5], s[8:9]
	v_cmp_gt_u64_e32 vcc_lo, s[8:9], v[1:2]
	v_add_lshl_u32 v2, v6, v5, 2
	s_mov_b32 s4, s16
	s_mov_b32 s5, s17
	s_or_b32 vcc_lo, s3, vcc_lo
	s_lshl_b32 s3, s10, 2
	v_cndmask_b32_e32 v2, -1, v2, vcc_lo
	buffer_load_dword v9, v2, s[4:7], s3 offen
	v_add_nc_u32_e32 v2, 11, v4
	v_mul_lo_u32 v2, s20, v2
	v_add_lshl_u32 v2, v6, v2, 2
	v_cndmask_b32_e32 v2, -1, v2, vcc_lo
	buffer_load_dword v10, v2, s[4:7], s3 offen
	v_add_nc_u32_e32 v2, 22, v4
	v_mul_lo_u32 v2, s20, v2
	v_add_lshl_u32 v2, v6, v2, 2
	;; [unrolled: 5-line block ×10, first 2 shown]
	v_lshlrev_b32_e32 v6, 2, v3
	v_mul_lo_u32 v3, s2, v3
	v_cndmask_b32_e32 v2, -1, v2, vcc_lo
	buffer_load_dword v16, v2, s[4:7], s3 offen
	v_mul_u32_u24_e32 v2, 0x1e4, v4
	s_add_i32 s3, 0, 0x14cc
	s_mov_b32 s4, s18
	s_mov_b32 s5, s19
	v_add3_u32 v2, 0, v2, v6
	s_waitcnt vmcnt(9)
	v_pk_add_f16 v6, v9, v10
	s_waitcnt vmcnt(8)
	v_pk_add_f16 v6, v6, v11
	;; [unrolled: 2-line block ×10, first 2 shown]
	v_pk_add_f16 v17, v10, v16
	v_pk_add_f16 v10, v10, v16 neg_lo:[0,1] neg_hi:[0,1]
	v_mov_b32_e32 v16, 0xb853
	v_lshrrev_b32_e32 v20, 16, v17
	v_mul_f16_e32 v21, 0xb853, v10
	v_mul_f16_sdwa v18, v10, v16 dst_sel:DWORD dst_unused:UNUSED_PAD src0_sel:WORD_1 src1_sel:DWORD
	v_mul_f16_sdwa v24, v10, v23 dst_sel:DWORD dst_unused:UNUSED_PAD src0_sel:WORD_1 src1_sel:DWORD
	v_mul_f16_e32 v26, 0xbb47, v10
	v_mul_f16_sdwa v29, v10, v28 dst_sel:DWORD dst_unused:UNUSED_PAD src0_sel:WORD_1 src1_sel:DWORD
	v_mul_f16_e32 v31, 0xbbeb, v10
	;; [unrolled: 2-line block ×3, first 2 shown]
	v_pk_mul_f16 v10, 0xb482, v10 op_sel_hi:[0,1]
	v_fmamk_f16 v22, v20, 0x3abb, v21
	v_fma_f16 v21, v20, 0x3abb, -v21
	v_fmamk_f16 v27, v20, 0x36a6, v26
	v_fma_f16 v26, v20, 0x36a6, -v26
	v_fmamk_f16 v32, v20, 0xb08e, v31
	v_fma_f16 v31, v20, 0xb08e, -v31
	v_fmamk_f16 v37, v20, 0xb93d, v36
	v_fma_f16 v20, v20, 0xb93d, -v36
	v_pk_fma_f16 v36, 0xbbad, v17, v10 op_sel:[0,0,1] op_sel_hi:[0,1,0] neg_lo:[0,0,1] neg_hi:[0,0,1]
	v_pk_fma_f16 v10, 0xbbad, v17, v10 op_sel:[0,0,1] op_sel_hi:[0,1,0]
	v_fma_f16 v19, v17, 0x3abb, -v18
	v_fmac_f16_e32 v18, 0x3abb, v17
	v_fma_f16 v25, v17, 0x36a6, -v24
	v_fmac_f16_e32 v24, 0x36a6, v17
	;; [unrolled: 2-line block ×4, first 2 shown]
	v_pk_add_f16 v17, v10, v9
	v_bfi_b32 v10, 0xffff, v10, v36
	v_add_f16_e32 v19, v19, v9
	v_add_f16_sdwa v22, v22, v9 dst_sel:DWORD dst_unused:UNUSED_PAD src0_sel:DWORD src1_sel:WORD_1
	v_add_f16_e32 v18, v18, v9
	v_add_f16_sdwa v21, v21, v9 dst_sel:DWORD dst_unused:UNUSED_PAD src0_sel:DWORD src1_sel:WORD_1
	;; [unrolled: 2-line block ×8, first 2 shown]
	v_pk_add_f16 v38, v36, v9
	v_pk_add_f16 v9, v10, v9
	;; [unrolled: 1-line block ×3, first 2 shown]
	v_pk_add_f16 v11, v11, v15 neg_lo:[0,1] neg_hi:[0,1]
	v_mul_f16_sdwa v15, v11, v23 dst_sel:DWORD dst_unused:UNUSED_PAD src0_sel:WORD_1 src1_sel:DWORD
	v_mul_f16_e32 v36, 0xbb47, v11
	v_fma_f16 v23, v10, 0x36a6, -v15
	v_fmac_f16_e32 v15, 0x36a6, v10
	v_add_f16_e32 v19, v23, v19
	v_lshrrev_b32_e32 v23, 16, v10
	v_add_f16_e32 v15, v15, v18
	v_fma_f16 v18, v23, 0x36a6, -v36
	v_fmamk_f16 v39, v23, 0x36a6, v36
	v_add_f16_e32 v18, v18, v21
	v_mul_f16_sdwa v21, v11, v33 dst_sel:DWORD dst_unused:UNUSED_PAD src0_sel:WORD_1 src1_sel:DWORD
	v_add_f16_e32 v22, v39, v22
	v_fma_f16 v36, v10, 0xb93d, -v21
	v_fmac_f16_e32 v21, 0xb93d, v10
	v_add_f16_e32 v25, v36, v25
	v_mul_f16_e32 v36, 0xba0c, v11
	v_add_f16_e32 v21, v21, v24
	v_fma_f16 v24, v23, 0xb93d, -v36
	v_fmamk_f16 v39, v23, 0xb93d, v36
	v_add_f16_e32 v24, v24, v26
	v_mov_b32_e32 v26, 0x3482
	v_add_f16_e32 v27, v39, v27
	v_mul_f16_sdwa v36, v11, v26 dst_sel:DWORD dst_unused:UNUSED_PAD src0_sel:WORD_1 src1_sel:DWORD
	v_fma_f16 v39, v10, 0xbbad, -v36
	v_fmac_f16_e32 v36, 0xbbad, v10
	v_add_f16_e32 v30, v39, v30
	v_mul_f16_e32 v39, 0x3482, v11
	v_add_f16_e32 v29, v36, v29
	v_fma_f16 v36, v23, 0xbbad, -v39
	v_fmamk_f16 v40, v23, 0xbbad, v39
	v_add_f16_e32 v31, v36, v31
	v_mov_b32_e32 v36, 0x3beb
	v_add_f16_e32 v32, v40, v32
	v_mul_f16_sdwa v39, v11, v36 dst_sel:DWORD dst_unused:UNUSED_PAD src0_sel:WORD_1 src1_sel:DWORD
	v_fma_f16 v40, v10, 0xb08e, -v39
	v_fmac_f16_e32 v39, 0xb08e, v10
	v_add_f16_e32 v35, v40, v35
	v_mul_f16_e32 v40, 0x3beb, v11
	v_pk_mul_f16 v11, 0x3853, v11 op_sel_hi:[0,1]
	v_add_f16_e32 v34, v39, v34
	v_fmamk_f16 v41, v23, 0xb08e, v40
	v_fma_f16 v23, v23, 0xb08e, -v40
	v_add_f16_e32 v37, v41, v37
	v_add_f16_e32 v20, v23, v20
	v_pk_fma_f16 v23, 0x3abb, v10, v11 op_sel:[0,0,1] op_sel_hi:[0,1,0] neg_lo:[0,0,1] neg_hi:[0,0,1]
	v_pk_fma_f16 v10, 0x3abb, v10, v11 op_sel:[0,0,1] op_sel_hi:[0,1,0]
	v_pk_add_f16 v38, v23, v38
	v_pk_add_f16 v11, v10, v17
	v_bfi_b32 v10, 0xffff, v10, v23
	v_pk_add_f16 v9, v10, v9
	v_pk_add_f16 v10, v12, v14
	v_pk_add_f16 v12, v12, v14 neg_lo:[0,1] neg_hi:[0,1]
	v_mul_f16_sdwa v14, v12, v28 dst_sel:DWORD dst_unused:UNUSED_PAD src0_sel:WORD_1 src1_sel:DWORD
	v_mul_f16_e32 v23, 0xbbeb, v12
	v_fma_f16 v17, v10, 0xb08e, -v14
	v_fmac_f16_e32 v14, 0xb08e, v10
	v_add_f16_e32 v17, v17, v19
	v_lshrrev_b32_e32 v19, 16, v10
	v_add_f16_e32 v14, v14, v15
	v_fma_f16 v15, v19, 0xb08e, -v23
	v_fmamk_f16 v28, v19, 0xb08e, v23
	v_add_f16_e32 v15, v15, v18
	v_mul_f16_sdwa v18, v12, v26 dst_sel:DWORD dst_unused:UNUSED_PAD src0_sel:WORD_1 src1_sel:DWORD
	v_add_f16_e32 v22, v28, v22
	v_mul_f16_e32 v28, 0x3b47, v12
	v_fma_f16 v23, v10, 0xbbad, -v18
	v_fmac_f16_e32 v18, 0xbbad, v10
	v_add_f16_e32 v23, v23, v25
	v_mul_f16_e32 v25, 0x3482, v12
	v_add_f16_e32 v18, v18, v21
	v_fma_f16 v21, v19, 0xbbad, -v25
	v_fmamk_f16 v26, v19, 0xbbad, v25
	v_add_f16_e32 v21, v21, v24
	v_mov_b32_e32 v24, 0x3b47
	v_add_f16_e32 v26, v26, v27
	v_mul_f16_sdwa v25, v12, v24 dst_sel:DWORD dst_unused:UNUSED_PAD src0_sel:WORD_1 src1_sel:DWORD
	v_fma_f16 v27, v10, 0x36a6, -v25
	v_fmac_f16_e32 v25, 0x36a6, v10
	v_add_f16_e32 v27, v27, v30
	v_fmamk_f16 v30, v19, 0x36a6, v28
	v_add_f16_e32 v25, v25, v29
	v_fma_f16 v28, v19, 0x36a6, -v28
	v_mul_f16_sdwa v29, v12, v16 dst_sel:DWORD dst_unused:UNUSED_PAD src0_sel:WORD_1 src1_sel:DWORD
	v_add_f16_e32 v30, v30, v32
	v_mul_f16_e32 v32, 0xb853, v12
	v_add_f16_e32 v28, v28, v31
	v_fma_f16 v31, v10, 0x3abb, -v29
	v_pk_mul_f16 v12, 0xba0c, v12 op_sel_hi:[0,1]
	v_fmac_f16_e32 v29, 0x3abb, v10
	v_add_f16_e32 v31, v31, v35
	v_fmamk_f16 v35, v19, 0x3abb, v32
	v_fma_f16 v19, v19, 0x3abb, -v32
	v_add_f16_e32 v29, v29, v34
	v_add_f16_e32 v35, v35, v37
	;; [unrolled: 1-line block ×3, first 2 shown]
	v_pk_fma_f16 v20, 0xb93d, v10, v12 op_sel:[0,0,1] op_sel_hi:[0,1,0] neg_lo:[0,0,1] neg_hi:[0,0,1]
	v_pk_fma_f16 v10, 0xb93d, v10, v12 op_sel:[0,0,1] op_sel_hi:[0,1,0]
	v_pk_add_f16 v32, v20, v38
	v_pk_add_f16 v11, v10, v11
	v_bfi_b32 v10, 0xffff, v10, v20
	v_pk_add_f16 v9, v10, v9
	v_pk_add_f16 v10, v8, v13
	v_pk_add_f16 v8, v8, v13 neg_lo:[0,1] neg_hi:[0,1]
	v_mul_f16_sdwa v12, v8, v33 dst_sel:DWORD dst_unused:UNUSED_PAD src0_sel:WORD_1 src1_sel:DWORD
	v_mul_f16_e32 v20, 0xba0c, v8
	v_mul_f16_sdwa v16, v8, v16 dst_sel:DWORD dst_unused:UNUSED_PAD src0_sel:WORD_1 src1_sel:DWORD
	v_fma_f16 v13, v10, 0xb93d, -v12
	v_fmac_f16_e32 v12, 0xb93d, v10
	v_add_f16_e32 v13, v13, v17
	v_lshrrev_b32_e32 v17, 16, v10
	v_add_f16_e32 v12, v12, v14
	v_fma_f16 v14, v17, 0xb93d, -v20
	v_fmamk_f16 v34, v17, 0xb93d, v20
	v_add_f16_e32 v14, v14, v15
	v_mul_f16_sdwa v15, v8, v36 dst_sel:DWORD dst_unused:UNUSED_PAD src0_sel:WORD_1 src1_sel:DWORD
	v_add_f16_e32 v22, v34, v22
	v_fma_f16 v20, v10, 0xb08e, -v15
	v_fmac_f16_e32 v15, 0xb08e, v10
	v_add_f16_e32 v20, v20, v23
	v_mul_f16_e32 v23, 0x3beb, v8
	v_add_f16_e32 v15, v15, v18
	v_fma_f16 v18, v17, 0xb08e, -v23
	v_fmamk_f16 v34, v17, 0xb08e, v23
	v_mul_f16_e32 v23, 0xb853, v8
	v_add_f16_e32 v18, v18, v21
	v_fma_f16 v21, v10, 0x3abb, -v16
	v_fmac_f16_e32 v16, 0x3abb, v10
	v_add_f16_e32 v26, v34, v26
	v_add_f16_e32 v21, v21, v27
	v_fmamk_f16 v27, v17, 0x3abb, v23
	v_add_f16_e32 v16, v16, v25
	v_fma_f16 v23, v17, 0x3abb, -v23
	v_mov_b32_e32 v25, 0xb482
	v_add_f16_e32 v27, v27, v30
	v_add_f16_e32 v23, v23, v28
	v_mul_f16_sdwa v28, v8, v25 dst_sel:DWORD dst_unused:UNUSED_PAD src0_sel:WORD_1 src1_sel:DWORD
	v_fma_f16 v30, v10, 0xbbad, -v28
	v_fmac_f16_e32 v28, 0xbbad, v10
	v_add_f16_e32 v30, v30, v31
	v_mul_f16_e32 v31, 0xb482, v8
	v_pk_mul_f16 v8, 0x3b47, v8 op_sel_hi:[0,1]
	v_add_f16_e32 v28, v28, v29
	v_fmamk_f16 v34, v17, 0xbbad, v31
	v_fma_f16 v17, v17, 0xbbad, -v31
	v_add_f16_e32 v34, v34, v35
	v_add_f16_e32 v17, v17, v19
	v_pk_fma_f16 v19, 0x36a6, v10, v8 op_sel:[0,0,1] op_sel_hi:[0,1,0] neg_lo:[0,0,1] neg_hi:[0,0,1]
	v_pk_fma_f16 v8, 0x36a6, v10, v8 op_sel:[0,0,1] op_sel_hi:[0,1,0]
	v_pk_add_f16 v29, v19, v32
	v_pk_add_f16 v10, v8, v11
	v_bfi_b32 v8, 0xffff, v8, v19
	v_pk_add_f16 v8, v8, v9
	v_pk_add_f16 v9, v5, v7
	v_pk_add_f16 v5, v5, v7 neg_lo:[0,1] neg_hi:[0,1]
	v_mul_f16_sdwa v7, v5, v25 dst_sel:DWORD dst_unused:UNUSED_PAD src0_sel:WORD_1 src1_sel:DWORD
	v_mul_f16_e32 v19, 0xb482, v5
	v_fma_f16 v11, v9, 0xbbad, -v7
	v_fmac_f16_e32 v7, 0xbbad, v9
	v_add_f16_e32 v11, v11, v13
	v_lshrrev_b32_e32 v13, 16, v9
	v_add_f16_e32 v7, v7, v12
	v_fma_f16 v12, v13, 0xbbad, -v19
	v_fmamk_f16 v25, v13, 0xbbad, v19
	v_add_f16_e32 v12, v12, v14
	v_mov_b32_e32 v14, 0x3853
	v_add_f16_e32 v22, v25, v22
	v_mul_f16_sdwa v14, v5, v14 dst_sel:DWORD dst_unused:UNUSED_PAD src0_sel:WORD_1 src1_sel:DWORD
	v_fma_f16 v19, v9, 0x3abb, -v14
	v_fmac_f16_e32 v14, 0x3abb, v9
	v_add_f16_e32 v19, v19, v20
	v_mul_f16_e32 v20, 0x3853, v5
	v_add_f16_e32 v14, v14, v15
	v_fma_f16 v15, v13, 0x3abb, -v20
	v_fmamk_f16 v25, v13, 0x3abb, v20
	v_add_f16_e32 v15, v15, v18
	v_mul_f16_sdwa v18, v5, v33 dst_sel:DWORD dst_unused:UNUSED_PAD src0_sel:WORD_1 src1_sel:DWORD
	v_add_f16_e32 v25, v25, v26
	v_fma_f16 v20, v9, 0xb93d, -v18
	v_fmac_f16_e32 v18, 0xb93d, v9
	v_add_f16_e32 v20, v20, v21
	v_mul_f16_e32 v21, 0xba0c, v5
	v_add_f16_e32 v16, v18, v16
	v_fmamk_f16 v26, v13, 0xb93d, v21
	v_fma_f16 v18, v13, 0xb93d, -v21
	v_mul_f16_sdwa v21, v5, v24 dst_sel:DWORD dst_unused:UNUSED_PAD src0_sel:WORD_1 src1_sel:DWORD
	v_mul_f16_e32 v24, 0x3b47, v5
	v_pk_mul_f16 v5, 0xbbeb, v5 op_sel_hi:[0,1]
	v_add_f16_e32 v26, v26, v27
	v_add_f16_e32 v18, v18, v23
	v_fma_f16 v23, v9, 0x36a6, -v21
	v_fmamk_f16 v27, v13, 0x36a6, v24
	v_fma_f16 v13, v13, 0x36a6, -v24
	v_fmac_f16_e32 v21, 0x36a6, v9
	v_add_f16_e32 v23, v23, v30
	v_add_f16_e32 v27, v27, v34
	;; [unrolled: 1-line block ×3, first 2 shown]
	v_pk_fma_f16 v17, 0xb08e, v9, v5 op_sel:[0,0,1] op_sel_hi:[0,1,0] neg_lo:[0,0,1] neg_hi:[0,0,1]
	v_pk_fma_f16 v5, 0xb08e, v9, v5 op_sel:[0,0,1] op_sel_hi:[0,1,0]
	v_add_f16_e32 v21, v21, v28
	v_pk_add_f16 v24, v17, v29
	v_pk_add_f16 v9, v5, v10
	v_bfi_b32 v5, 0xffff, v5, v17
	v_pk_add_f16 v5, v5, v8
	v_pack_b32_f16 v8, v11, v22
	ds_write2_b32 v2, v6, v8 offset1:11
	v_pack_b32_f16 v6, v19, v25
	v_pack_b32_f16 v8, v20, v26
	ds_write2_b32 v2, v6, v8 offset0:22 offset1:33
	v_pack_b32_f16 v6, v23, v27
	v_bfi_b32 v8, 0xffff, v24, v9
	ds_write2_b32 v2, v6, v8 offset0:44 offset1:55
	v_pack_b32_f16 v6, v21, v13
	ds_write2_b32 v2, v5, v6 offset0:66 offset1:77
	v_pack_b32_f16 v5, v16, v18
	v_pack_b32_f16 v6, v14, v15
	ds_write2_b32 v2, v5, v6 offset0:88 offset1:99
	v_pack_b32_f16 v5, v7, v12
	ds_write_b32 v2, v5 offset:440
	v_mad_i32_i24 v2, 0xfffffe48, v4, v2
	s_waitcnt lgkmcnt(0)
	s_barrier
	buffer_gl0_inv
	v_add_nc_u32_e32 v5, 0x200, v2
	ds_read2_b32 v[8:9], v2 offset1:121
	ds_read2_b32 v[10:11], v5 offset0:114 offset1:235
	v_add_nc_u32_e32 v5, 0x600, v2
	ds_read2_b32 v[12:13], v5 offset0:100 offset1:221
	ds_read_u16 v18, v2 offset:2422
	v_add_nc_u32_e32 v5, 0xa00, v2
	ds_read_b32 v23, v2 offset:4840
	ds_read2_b32 v[14:15], v5 offset0:86 offset1:207
	v_add_nc_u32_e32 v5, 0xe00, v2
	v_mul_hi_u32 v2, 0x1745d175, v4
	s_waitcnt lgkmcnt(5)
	v_lshrrev_b32_e32 v26, 16, v9
	ds_read2_b32 v[16:17], v5 offset0:72 offset1:193
	v_mul_u32_u24_e32 v2, 11, v2
	v_sub_nc_u32_e32 v2, v4, v2
	s_waitcnt lgkmcnt(2)
	v_lshrrev_b32_e32 v24, 16, v23
	v_mul_u32_u24_e32 v4, 10, v2
	s_waitcnt lgkmcnt(1)
	v_lshrrev_b32_e32 v19, 16, v14
	v_lshrrev_b32_e32 v20, 16, v15
	v_mad_u32_u24 v0, 0x79, v0, v2
	v_lshlrev_b32_e32 v25, 2, v4
	s_waitcnt lgkmcnt(0)
	v_lshrrev_b32_e32 v21, 16, v16
	v_lshrrev_b32_e32 v22, 16, v17
	global_load_dwordx4 v[4:7], v25, s[24:25]
	s_waitcnt vmcnt(0)
	v_mul_f16_sdwa v27, v4, v26 dst_sel:DWORD dst_unused:UNUSED_PAD src0_sel:WORD_1 src1_sel:DWORD
	v_fma_f16 v27, v4, v9, -v27
	v_mul_f16_sdwa v9, v4, v9 dst_sel:DWORD dst_unused:UNUSED_PAD src0_sel:WORD_1 src1_sel:DWORD
	v_fmac_f16_e32 v9, v4, v26
	v_lshrrev_b32_e32 v4, 16, v10
	v_mul_f16_sdwa v26, v5, v4 dst_sel:DWORD dst_unused:UNUSED_PAD src0_sel:WORD_1 src1_sel:DWORD
	v_fma_f16 v26, v5, v10, -v26
	v_mul_f16_sdwa v10, v5, v10 dst_sel:DWORD dst_unused:UNUSED_PAD src0_sel:WORD_1 src1_sel:DWORD
	v_fmac_f16_e32 v10, v5, v4
	v_lshrrev_b32_e32 v4, 16, v11
	;; [unrolled: 5-line block ×3, first 2 shown]
	v_mul_f16_sdwa v5, v7, v4 dst_sel:DWORD dst_unused:UNUSED_PAD src0_sel:WORD_1 src1_sel:DWORD
	v_fma_f16 v29, v7, v12, -v5
	v_mul_f16_sdwa v12, v7, v12 dst_sel:DWORD dst_unused:UNUSED_PAD src0_sel:WORD_1 src1_sel:DWORD
	v_fmac_f16_e32 v12, v7, v4
	global_load_dwordx4 v[4:7], v25, s[24:25] offset:16
	s_waitcnt vmcnt(0)
	v_mul_f16_sdwa v30, v18, v4 dst_sel:DWORD dst_unused:UNUSED_PAD src0_sel:DWORD src1_sel:WORD_1
	v_mul_f16_sdwa v31, v15, v6 dst_sel:DWORD dst_unused:UNUSED_PAD src0_sel:DWORD src1_sel:WORD_1
	v_fma_f16 v30, v4, v13, -v30
	v_mul_f16_sdwa v13, v4, v13 dst_sel:DWORD dst_unused:UNUSED_PAD src0_sel:WORD_1 src1_sel:DWORD
	v_fmac_f16_e32 v31, v20, v6
	v_fmac_f16_e32 v13, v18, v4
	v_mul_f16_sdwa v4, v19, v5 dst_sel:DWORD dst_unused:UNUSED_PAD src0_sel:DWORD src1_sel:WORD_1
	v_fma_f16 v18, v14, v5, -v4
	v_mul_f16_sdwa v14, v14, v5 dst_sel:DWORD dst_unused:UNUSED_PAD src0_sel:DWORD src1_sel:WORD_1
	v_mul_f16_sdwa v4, v20, v6 dst_sel:DWORD dst_unused:UNUSED_PAD src0_sel:DWORD src1_sel:WORD_1
	v_fmac_f16_e32 v14, v19, v5
	v_fma_f16 v19, v15, v6, -v4
	v_mul_f16_sdwa v4, v21, v7 dst_sel:DWORD dst_unused:UNUSED_PAD src0_sel:DWORD src1_sel:WORD_1
	v_add_f16_sdwa v15, v9, v8 dst_sel:DWORD dst_unused:UNUSED_PAD src0_sel:DWORD src1_sel:WORD_1
	v_fma_f16 v6, v16, v7, -v4
	global_load_dwordx2 v[4:5], v25, s[24:25] offset:32
	v_mul_f16_sdwa v16, v16, v7 dst_sel:DWORD dst_unused:UNUSED_PAD src0_sel:DWORD src1_sel:WORD_1
	v_add_f16_e32 v15, v15, v10
	v_fmac_f16_e32 v16, v21, v7
	v_add_f16_e32 v15, v15, v11
	v_add_f16_e32 v15, v15, v12
	;; [unrolled: 1-line block ×6, first 2 shown]
	s_waitcnt vmcnt(0)
	v_mul_f16_sdwa v7, v22, v4 dst_sel:DWORD dst_unused:UNUSED_PAD src0_sel:DWORD src1_sel:WORD_1
	v_mul_f16_sdwa v20, v17, v4 dst_sel:DWORD dst_unused:UNUSED_PAD src0_sel:DWORD src1_sel:WORD_1
	v_mul_f16_sdwa v21, v23, v5 dst_sel:DWORD dst_unused:UNUSED_PAD src0_sel:DWORD src1_sel:WORD_1
	v_fma_f16 v7, v17, v4, -v7
	v_fmac_f16_e32 v20, v22, v4
	v_mul_f16_sdwa v4, v24, v5 dst_sel:DWORD dst_unused:UNUSED_PAD src0_sel:DWORD src1_sel:WORD_1
	v_fmac_f16_e32 v21, v24, v5
	v_add_f16_e32 v17, v15, v20
	v_fma_f16 v4, v23, v5, -v4
	v_add_f16_e32 v5, v27, v8
	v_add_f16_e32 v22, v9, v21
	v_sub_f16_e32 v9, v9, v21
	v_add_f16_e32 v17, v17, v21
	v_add_f16_e32 v5, v5, v26
	v_mul_f16_e32 v21, 0xb853, v9
	v_mul_f16_e32 v35, 0xbbeb, v9
	;; [unrolled: 1-line block ×3, first 2 shown]
	v_add_f16_e32 v5, v5, v28
	v_add_f16_e32 v5, v5, v29
	;; [unrolled: 1-line block ×9, first 2 shown]
	v_sub_f16_e32 v4, v27, v4
	v_mul_f16_e32 v27, 0xbb47, v9
	v_mul_f16_e32 v9, 0xb482, v9
	v_fma_f16 v23, v5, 0x3abb, -v21
	v_mul_f16_e32 v24, 0xb853, v4
	v_mul_f16_e32 v33, 0xbb47, v4
	v_mul_f16_e32 v37, 0xbbeb, v4
	v_mul_f16_e32 v41, 0xba0c, v4
	v_fma_f16 v43, v5, 0xbbad, -v9
	v_mul_f16_e32 v4, 0xb482, v4
	v_fmac_f16_e32 v9, 0xbbad, v5
	v_fmamk_f16 v25, v22, 0x3abb, v24
	v_fmac_f16_e32 v21, 0x3abb, v5
	v_fma_f16 v24, v22, 0x3abb, -v24
	v_fma_f16 v32, v5, 0x36a6, -v27
	v_fmamk_f16 v34, v22, 0x36a6, v33
	v_fmac_f16_e32 v27, 0x36a6, v5
	v_fma_f16 v33, v22, 0x36a6, -v33
	v_fma_f16 v36, v5, 0xb08e, -v35
	;; [unrolled: 4-line block ×3, first 2 shown]
	v_fmamk_f16 v42, v22, 0xb93d, v41
	v_fmac_f16_e32 v39, 0xb93d, v5
	v_fma_f16 v41, v22, 0xb93d, -v41
	v_fmamk_f16 v44, v22, 0xbbad, v4
	v_add_f16_e32 v5, v9, v8
	v_fma_f16 v4, v22, 0xbbad, -v4
	v_add_f16_e32 v9, v10, v20
	v_sub_f16_e32 v10, v10, v20
	v_add_f16_e32 v23, v23, v8
	v_add_f16_sdwa v25, v25, v8 dst_sel:DWORD dst_unused:UNUSED_PAD src0_sel:DWORD src1_sel:WORD_1
	v_add_f16_e32 v21, v21, v8
	v_add_f16_sdwa v24, v24, v8 dst_sel:DWORD dst_unused:UNUSED_PAD src0_sel:DWORD src1_sel:WORD_1
	;; [unrolled: 2-line block ×9, first 2 shown]
	v_add_f16_sdwa v4, v4, v8 dst_sel:DWORD dst_unused:UNUSED_PAD src0_sel:DWORD src1_sel:WORD_1
	v_add_f16_e32 v8, v26, v7
	v_mul_f16_e32 v20, 0xbb47, v10
	v_sub_f16_e32 v7, v26, v7
	v_fma_f16 v22, v8, 0x36a6, -v20
	v_fmac_f16_e32 v20, 0x36a6, v8
	v_add_f16_e32 v22, v22, v23
	v_mul_f16_e32 v23, 0xbb47, v7
	v_add_f16_e32 v20, v20, v21
	v_fmamk_f16 v26, v9, 0x36a6, v23
	v_fma_f16 v21, v9, 0x36a6, -v23
	v_mul_f16_e32 v23, 0xba0c, v10
	v_add_f16_e32 v25, v26, v25
	v_add_f16_e32 v21, v21, v24
	v_fma_f16 v24, v8, 0xb93d, -v23
	v_mul_f16_e32 v26, 0xba0c, v7
	v_fmac_f16_e32 v23, 0xb93d, v8
	v_add_f16_e32 v24, v24, v32
	v_fmamk_f16 v32, v9, 0xb93d, v26
	v_add_f16_e32 v23, v23, v27
	v_fma_f16 v26, v9, 0xb93d, -v26
	v_mul_f16_e32 v27, 0x3482, v10
	v_add_f16_e32 v32, v32, v34
	v_mul_f16_e32 v34, 0x3482, v7
	v_add_f16_e32 v26, v26, v33
	v_fma_f16 v33, v8, 0xbbad, -v27
	v_fmac_f16_e32 v27, 0xbbad, v8
	v_add_f16_e32 v33, v33, v36
	v_fmamk_f16 v36, v9, 0xbbad, v34
	v_add_f16_e32 v27, v27, v35
	v_fma_f16 v34, v9, 0xbbad, -v34
	v_mul_f16_e32 v35, 0x3beb, v10
	v_mul_f16_e32 v10, 0x3853, v10
	v_add_f16_e32 v36, v36, v38
	v_mul_f16_e32 v38, 0x3beb, v7
	v_add_f16_e32 v34, v34, v37
	v_fma_f16 v37, v8, 0xb08e, -v35
	v_fmac_f16_e32 v35, 0xb08e, v8
	v_mul_f16_e32 v7, 0x3853, v7
	v_add_f16_e32 v37, v37, v40
	v_fmamk_f16 v40, v9, 0xb08e, v38
	v_fma_f16 v38, v9, 0xb08e, -v38
	v_add_f16_e32 v35, v35, v39
	v_fma_f16 v39, v8, 0x3abb, -v10
	v_fmac_f16_e32 v10, 0x3abb, v8
	v_add_f16_e32 v8, v11, v16
	v_add_f16_e32 v38, v38, v41
	v_fmamk_f16 v41, v9, 0x3abb, v7
	v_fma_f16 v7, v9, 0x3abb, -v7
	v_sub_f16_e32 v9, v11, v16
	v_add_f16_e32 v5, v10, v5
	v_add_f16_e32 v39, v39, v43
	;; [unrolled: 1-line block ×5, first 2 shown]
	v_sub_f16_e32 v6, v28, v6
	v_mul_f16_e32 v10, 0xbbeb, v9
	v_add_f16_e32 v41, v41, v44
	v_mul_f16_e32 v16, 0xbbeb, v6
	v_fma_f16 v11, v7, 0xb08e, -v10
	v_fmac_f16_e32 v10, 0xb08e, v7
	v_mul_f16_e32 v28, 0x3b47, v6
	v_add_f16_e32 v11, v11, v22
	v_fmamk_f16 v22, v8, 0xb08e, v16
	v_add_f16_e32 v10, v10, v20
	v_fma_f16 v16, v8, 0xb08e, -v16
	v_mul_f16_e32 v20, 0x3482, v9
	v_add_f16_e32 v22, v22, v25
	v_add_f16_e32 v16, v16, v21
	v_fma_f16 v21, v7, 0xbbad, -v20
	v_fmac_f16_e32 v20, 0xbbad, v7
	v_add_f16_e32 v21, v21, v24
	v_mul_f16_e32 v24, 0x3482, v6
	v_add_f16_e32 v20, v20, v23
	v_fmamk_f16 v25, v8, 0xbbad, v24
	v_fma_f16 v23, v8, 0xbbad, -v24
	v_mul_f16_e32 v24, 0x3b47, v9
	v_add_f16_e32 v25, v25, v32
	v_add_f16_e32 v23, v23, v26
	v_fma_f16 v26, v7, 0x36a6, -v24
	v_fmac_f16_e32 v24, 0x36a6, v7
	v_fmamk_f16 v32, v8, 0x36a6, v28
	v_add_f16_e32 v26, v26, v33
	v_add_f16_e32 v24, v24, v27
	v_fma_f16 v27, v8, 0x36a6, -v28
	v_mul_f16_e32 v28, 0xb853, v9
	v_mul_f16_e32 v9, 0xba0c, v9
	v_add_f16_e32 v32, v32, v36
	v_add_f16_e32 v27, v27, v34
	v_fma_f16 v33, v7, 0x3abb, -v28
	v_fmac_f16_e32 v28, 0x3abb, v7
	v_mul_f16_e32 v34, 0xb853, v6
	v_mul_f16_e32 v6, 0xba0c, v6
	v_add_f16_e32 v33, v33, v37
	v_add_f16_e32 v28, v28, v35
	v_fma_f16 v35, v7, 0xb93d, -v9
	v_fmac_f16_e32 v9, 0xb93d, v7
	v_fmamk_f16 v37, v8, 0xb93d, v6
	v_fma_f16 v6, v8, 0xb93d, -v6
	v_add_f16_e32 v7, v12, v31
	v_fmamk_f16 v36, v8, 0x3abb, v34
	v_add_f16_e32 v5, v9, v5
	v_sub_f16_e32 v9, v12, v31
	v_add_f16_e32 v4, v6, v4
	v_add_f16_e32 v6, v29, v19
	v_fma_f16 v34, v8, 0x3abb, -v34
	v_sub_f16_e32 v8, v29, v19
	v_mul_f16_e32 v12, 0xba0c, v9
	v_add_f16_e32 v35, v35, v39
	v_add_f16_e32 v36, v36, v40
	;; [unrolled: 1-line block ×4, first 2 shown]
	v_fma_f16 v19, v6, 0xb93d, -v12
	v_fmac_f16_e32 v12, 0xb93d, v6
	v_add_f16_e32 v40, v13, v14
	v_sub_f16_e32 v13, v13, v14
	v_add_f16_e32 v39, v30, v18
	v_add_f16_e32 v11, v19, v11
	v_mul_f16_e32 v19, 0xba0c, v8
	v_add_f16_e32 v10, v12, v10
	v_sub_f16_e32 v18, v30, v18
	v_fma_f16 v12, v7, 0xb93d, -v19
	v_fmamk_f16 v29, v7, 0xb93d, v19
	v_add_f16_e32 v12, v12, v16
	v_mul_f16_e32 v16, 0x3beb, v9
	v_add_f16_e32 v22, v29, v22
	v_fma_f16 v19, v6, 0xb08e, -v16
	v_fmac_f16_e32 v16, 0xb08e, v6
	v_add_f16_e32 v19, v19, v21
	v_mul_f16_e32 v21, 0x3beb, v8
	v_add_f16_e32 v16, v16, v20
	v_fma_f16 v20, v7, 0xb08e, -v21
	v_fmamk_f16 v29, v7, 0xb08e, v21
	v_add_f16_e32 v21, v20, v23
	v_mul_f16_e32 v20, 0xb853, v9
	v_add_f16_e32 v25, v29, v25
	v_fma_f16 v23, v6, 0x3abb, -v20
	v_fmac_f16_e32 v20, 0x3abb, v6
	v_add_f16_e32 v23, v23, v26
	v_mul_f16_e32 v26, 0xb853, v8
	v_add_f16_e32 v31, v20, v24
	v_fma_f16 v20, v7, 0x3abb, -v26
	v_fmamk_f16 v29, v7, 0x3abb, v26
	v_add_f16_e32 v27, v20, v27
	v_mul_f16_e32 v20, 0xb482, v9
	v_add_f16_e32 v29, v29, v32
	v_mul_f16_e32 v9, 0x3b47, v9
	v_fma_f16 v24, v6, 0xbbad, -v20
	v_fmac_f16_e32 v20, 0xbbad, v6
	v_add_f16_e32 v32, v24, v33
	v_mul_f16_e32 v24, 0xb482, v8
	v_add_f16_e32 v28, v20, v28
	v_mul_f16_e32 v8, 0x3b47, v8
	v_fma_f16 v20, v7, 0xbbad, -v24
	v_fmamk_f16 v26, v7, 0xbbad, v24
	v_add_f16_e32 v34, v20, v34
	v_fma_f16 v20, v6, 0x36a6, -v9
	v_fmac_f16_e32 v9, 0x36a6, v6
	v_add_f16_e32 v33, v26, v36
	v_add_f16_e32 v35, v20, v35
	v_fmamk_f16 v20, v7, 0x36a6, v8
	v_add_f16_e32 v36, v20, v37
	v_add_f16_e32 v37, v9, v5
	v_fma_f16 v5, v7, 0x36a6, -v8
	v_add_f16_e32 v38, v5, v4
	v_mul_f16_e32 v4, 0xb482, v13
	v_fma_f16 v5, v39, 0xbbad, -v4
	v_fmac_f16_e32 v4, 0xbbad, v39
	v_add_f16_e32 v30, v5, v11
	v_mul_f16_e32 v5, 0xb482, v18
	v_add_f16_e32 v4, v4, v10
	v_fmamk_f16 v6, v40, 0xbbad, v5
	v_fma_f16 v5, v40, 0xbbad, -v5
	v_add_f16_e32 v41, v6, v22
	v_mul_f16_e32 v6, 0x3853, v13
	v_add_f16_e32 v5, v5, v12
	v_fma_f16 v7, v39, 0x3abb, -v6
	v_fmac_f16_e32 v6, 0x3abb, v39
	v_add_f16_e32 v20, v7, v19
	v_mul_f16_e32 v7, 0x3853, v18
	v_add_f16_e32 v6, v6, v16
	v_mul_lo_u32 v19, v2, v1
	v_mul_lo_u32 v2, s0, v0
	v_fmamk_f16 v8, v40, 0x3abb, v7
	v_fma_f16 v7, v40, 0x3abb, -v7
	v_add_f16_e32 v26, v8, v25
	v_mul_f16_e32 v8, 0xba0c, v13
	v_add_f16_e32 v7, v7, v21
	v_add_lshl_u32 v2, v3, v2, 2
	v_fma_f16 v9, v39, 0xb93d, -v8
	v_fmac_f16_e32 v8, 0xb93d, v39
	v_cndmask_b32_e32 v2, -1, v2, vcc_lo
	v_add_f16_e32 v24, v9, v23
	v_mul_f16_e32 v9, 0xba0c, v18
	v_add_f16_e32 v8, v8, v31
	v_fmamk_f16 v10, v40, 0xb93d, v9
	v_fma_f16 v9, v40, 0xb93d, -v9
	v_add_f16_e32 v25, v10, v29
	v_mul_f16_e32 v10, 0x3b47, v13
	v_add_f16_e32 v9, v9, v27
	v_lshrrev_b32_e32 v27, 4, v19
	v_fma_f16 v11, v39, 0x36a6, -v10
	v_fmac_f16_e32 v10, 0x36a6, v39
	v_and_b32_e32 v27, 0xfc, v27
	v_add_f16_e32 v21, v11, v32
	v_mul_f16_e32 v11, 0x3b47, v18
	v_add_nc_u32_e32 v27, s3, v27
	v_add_f16_e32 v10, v10, v28
	v_fmamk_f16 v12, v40, 0x36a6, v11
	ds_read_b32 v27, v27 offset:256
	v_fma_f16 v11, v40, 0x36a6, -v11
	v_add_f16_e32 v22, v12, v33
	v_mul_f16_e32 v12, 0xbbeb, v13
	v_add_f16_e32 v11, v11, v34
	v_fma_f16 v13, v39, 0xb08e, -v12
	v_fmac_f16_e32 v12, 0xb08e, v39
	v_add_f16_e32 v16, v13, v35
	v_mul_f16_e32 v13, 0xbbeb, v18
	v_add_f16_e32 v12, v12, v37
	v_fmamk_f16 v14, v40, 0xb08e, v13
	v_fma_f16 v13, v40, 0xb08e, -v13
	v_add_f16_e32 v18, v14, v36
	v_and_b32_e32 v14, 63, v19
	v_add_f16_e32 v13, v13, v38
	v_lshl_add_u32 v14, v14, 2, 0
	ds_read_b32 v14, v14 offset:5324
	s_waitcnt lgkmcnt(0)
	v_lshrrev_b32_e32 v23, 16, v14
	v_mul_f16_sdwa v28, v23, v27 dst_sel:DWORD dst_unused:UNUSED_PAD src0_sel:DWORD src1_sel:WORD_1
	v_fma_f16 v28, v14, v27, -v28
	v_mul_f16_sdwa v14, v14, v27 dst_sel:DWORD dst_unused:UNUSED_PAD src0_sel:DWORD src1_sel:WORD_1
	v_fmac_f16_e32 v14, v23, v27
	v_lshrrev_b32_e32 v23, 10, v19
	v_and_b32_e32 v23, 0xfc, v23
	v_add_nc_u32_e32 v23, s3, v23
	ds_read_b32 v23, v23 offset:512
	s_waitcnt lgkmcnt(0)
	v_mul_f16_sdwa v27, v14, v23 dst_sel:DWORD dst_unused:UNUSED_PAD src0_sel:DWORD src1_sel:WORD_1
	v_fma_f16 v27, v23, v28, -v27
	v_mul_f16_sdwa v28, v28, v23 dst_sel:DWORD dst_unused:UNUSED_PAD src0_sel:DWORD src1_sel:WORD_1
	v_fmac_f16_e32 v28, v23, v14
	v_mul_lo_u32 v23, v1, 11
	v_mul_f16_e32 v14, v17, v28
	v_add_nc_u32_e32 v19, v19, v23
	v_fma_f16 v14, v15, v27, -v14
	v_mul_f16_e32 v15, v15, v28
	v_and_b32_e32 v1, 63, v19
	v_fmac_f16_e32 v15, v17, v27
	v_lshrrev_b32_e32 v27, 4, v19
	v_lshl_add_u32 v1, v1, 2, 0
	v_and_b32_e32 v27, 0xfc, v27
	ds_read_b32 v1, v1 offset:5324
	v_add_nc_u32_e32 v27, s3, v27
	ds_read_b32 v27, v27 offset:256
	s_waitcnt lgkmcnt(1)
	v_lshrrev_b32_e32 v17, 16, v1
	s_waitcnt lgkmcnt(0)
	v_mul_f16_sdwa v28, v17, v27 dst_sel:DWORD dst_unused:UNUSED_PAD src0_sel:DWORD src1_sel:WORD_1
	v_fma_f16 v28, v1, v27, -v28
	v_mul_f16_sdwa v1, v1, v27 dst_sel:DWORD dst_unused:UNUSED_PAD src0_sel:DWORD src1_sel:WORD_1
	v_fmac_f16_e32 v1, v17, v27
	v_lshrrev_b32_e32 v17, 10, v19
	v_and_b32_e32 v17, 0xfc, v17
	v_add_nc_u32_e32 v17, s3, v17
	ds_read_b32 v17, v17 offset:512
	s_waitcnt lgkmcnt(0)
	v_mul_f16_sdwa v27, v1, v17 dst_sel:DWORD dst_unused:UNUSED_PAD src0_sel:DWORD src1_sel:WORD_1
	v_fma_f16 v27, v17, v28, -v27
	v_mul_f16_sdwa v28, v28, v17 dst_sel:DWORD dst_unused:UNUSED_PAD src0_sel:DWORD src1_sel:WORD_1
	v_fmac_f16_e32 v28, v17, v1
	v_mul_f16_e32 v1, v41, v28
	v_mul_f16_e32 v17, v30, v28
	v_fma_f16 v1, v30, v27, -v1
	v_fmac_f16_e32 v17, v41, v27
	v_add_nc_u32_e32 v27, v19, v23
	v_and_b32_e32 v19, 63, v27
	v_lshrrev_b32_e32 v29, 4, v27
	v_lshl_add_u32 v19, v19, 2, 0
	v_and_b32_e32 v29, 0xfc, v29
	ds_read_b32 v19, v19 offset:5324
	v_add_nc_u32_e32 v29, s3, v29
	ds_read_b32 v29, v29 offset:256
	s_waitcnt lgkmcnt(1)
	v_lshrrev_b32_e32 v28, 16, v19
	s_waitcnt lgkmcnt(0)
	v_mul_f16_sdwa v30, v28, v29 dst_sel:DWORD dst_unused:UNUSED_PAD src0_sel:DWORD src1_sel:WORD_1
	v_fma_f16 v30, v19, v29, -v30
	v_mul_f16_sdwa v19, v19, v29 dst_sel:DWORD dst_unused:UNUSED_PAD src0_sel:DWORD src1_sel:WORD_1
	v_fmac_f16_e32 v19, v28, v29
	v_lshrrev_b32_e32 v28, 10, v27
	v_add_nc_u32_e32 v27, v27, v23
	v_and_b32_e32 v28, 0xfc, v28
	v_add_nc_u32_e32 v28, s3, v28
	ds_read_b32 v28, v28 offset:512
	s_waitcnt lgkmcnt(0)
	v_mul_f16_sdwa v29, v19, v28 dst_sel:DWORD dst_unused:UNUSED_PAD src0_sel:DWORD src1_sel:WORD_1
	v_fma_f16 v29, v28, v30, -v29
	v_mul_f16_sdwa v30, v30, v28 dst_sel:DWORD dst_unused:UNUSED_PAD src0_sel:DWORD src1_sel:WORD_1
	v_fmac_f16_e32 v30, v28, v19
	v_mul_f16_e32 v19, v26, v30
	v_fma_f16 v19, v20, v29, -v19
	v_mul_f16_e32 v20, v20, v30
	v_fmac_f16_e32 v20, v26, v29
	v_and_b32_e32 v26, 63, v27
	v_lshrrev_b32_e32 v29, 4, v27
	v_lshl_add_u32 v26, v26, 2, 0
	v_and_b32_e32 v29, 0xfc, v29
	ds_read_b32 v26, v26 offset:5324
	v_add_nc_u32_e32 v29, s3, v29
	ds_read_b32 v29, v29 offset:256
	s_waitcnt lgkmcnt(1)
	v_lshrrev_b32_e32 v28, 16, v26
	s_waitcnt lgkmcnt(0)
	v_mul_f16_sdwa v30, v28, v29 dst_sel:DWORD dst_unused:UNUSED_PAD src0_sel:DWORD src1_sel:WORD_1
	v_fma_f16 v30, v26, v29, -v30
	v_mul_f16_sdwa v26, v26, v29 dst_sel:DWORD dst_unused:UNUSED_PAD src0_sel:DWORD src1_sel:WORD_1
	v_fmac_f16_e32 v26, v28, v29
	v_lshrrev_b32_e32 v28, 10, v27
	v_add_nc_u32_e32 v27, v27, v23
	v_and_b32_e32 v28, 0xfc, v28
	v_add_nc_u32_e32 v28, s3, v28
	ds_read_b32 v28, v28 offset:512
	s_waitcnt lgkmcnt(0)
	v_mul_f16_sdwa v29, v26, v28 dst_sel:DWORD dst_unused:UNUSED_PAD src0_sel:DWORD src1_sel:WORD_1
	v_fma_f16 v29, v28, v30, -v29
	v_mul_f16_sdwa v30, v30, v28 dst_sel:DWORD dst_unused:UNUSED_PAD src0_sel:DWORD src1_sel:WORD_1
	v_fmac_f16_e32 v30, v28, v26
	v_mul_f16_e32 v26, v25, v30
	v_fma_f16 v26, v24, v29, -v26
	v_mul_f16_e32 v24, v24, v30
	v_fmac_f16_e32 v24, v25, v29
	v_and_b32_e32 v25, 63, v27
	v_lshrrev_b32_e32 v29, 4, v27
	v_lshl_add_u32 v25, v25, 2, 0
	v_and_b32_e32 v29, 0xfc, v29
	ds_read_b32 v25, v25 offset:5324
	v_add_nc_u32_e32 v29, s3, v29
	ds_read_b32 v29, v29 offset:256
	s_waitcnt lgkmcnt(1)
	v_lshrrev_b32_e32 v28, 16, v25
	s_waitcnt lgkmcnt(0)
	v_mul_f16_sdwa v30, v28, v29 dst_sel:DWORD dst_unused:UNUSED_PAD src0_sel:DWORD src1_sel:WORD_1
	v_fma_f16 v30, v25, v29, -v30
	v_mul_f16_sdwa v25, v25, v29 dst_sel:DWORD dst_unused:UNUSED_PAD src0_sel:DWORD src1_sel:WORD_1
	v_fmac_f16_e32 v25, v28, v29
	v_lshrrev_b32_e32 v28, 10, v27
	v_and_b32_e32 v28, 0xfc, v28
	v_add_nc_u32_e32 v28, s3, v28
	ds_read_b32 v28, v28 offset:512
	s_waitcnt lgkmcnt(0)
	v_mul_f16_sdwa v29, v25, v28 dst_sel:DWORD dst_unused:UNUSED_PAD src0_sel:DWORD src1_sel:WORD_1
	v_fma_f16 v29, v28, v30, -v29
	v_mul_f16_sdwa v30, v30, v28 dst_sel:DWORD dst_unused:UNUSED_PAD src0_sel:DWORD src1_sel:WORD_1
	v_fmac_f16_e32 v30, v28, v25
	v_mul_f16_e32 v25, v22, v30
	v_fma_f16 v25, v21, v29, -v25
	v_mul_f16_e32 v21, v21, v30
	v_fmac_f16_e32 v21, v22, v29
	v_add_nc_u32_e32 v22, v27, v23
	v_and_b32_e32 v27, 63, v22
	v_lshrrev_b32_e32 v29, 4, v22
	v_lshl_add_u32 v27, v27, 2, 0
	v_and_b32_e32 v29, 0xfc, v29
	ds_read_b32 v27, v27 offset:5324
	v_add_nc_u32_e32 v29, s3, v29
	ds_read_b32 v29, v29 offset:256
	s_waitcnt lgkmcnt(1)
	v_lshrrev_b32_e32 v28, 16, v27
	s_waitcnt lgkmcnt(0)
	v_mul_f16_sdwa v30, v28, v29 dst_sel:DWORD dst_unused:UNUSED_PAD src0_sel:DWORD src1_sel:WORD_1
	v_fma_f16 v30, v27, v29, -v30
	v_mul_f16_sdwa v27, v27, v29 dst_sel:DWORD dst_unused:UNUSED_PAD src0_sel:DWORD src1_sel:WORD_1
	v_fmac_f16_e32 v27, v28, v29
	v_lshrrev_b32_e32 v28, 10, v22
	v_and_b32_e32 v28, 0xfc, v28
	v_add_nc_u32_e32 v28, s3, v28
	ds_read_b32 v28, v28 offset:512
	s_waitcnt lgkmcnt(0)
	v_mul_f16_sdwa v29, v27, v28 dst_sel:DWORD dst_unused:UNUSED_PAD src0_sel:DWORD src1_sel:WORD_1
	v_fma_f16 v29, v28, v30, -v29
	v_mul_f16_sdwa v30, v30, v28 dst_sel:DWORD dst_unused:UNUSED_PAD src0_sel:DWORD src1_sel:WORD_1
	v_fmac_f16_e32 v30, v28, v27
	v_mul_f16_e32 v27, v18, v30
	v_fma_f16 v27, v16, v29, -v27
	v_mul_f16_e32 v16, v16, v30
	v_fmac_f16_e32 v16, v18, v29
	v_add_nc_u32_e32 v18, v22, v23
	;; [unrolled: 28-line block ×6, first 2 shown]
	v_and_b32_e32 v9, 63, v7
	v_lshrrev_b32_e32 v28, 4, v7
	v_lshrrev_b32_e32 v7, 10, v7
	v_lshl_add_u32 v9, v9, 2, 0
	v_and_b32_e32 v28, 0xfc, v28
	v_and_b32_e32 v7, 0xfc, v7
	ds_read_b32 v9, v9 offset:5324
	v_add_nc_u32_e32 v28, s3, v28
	v_add_nc_u32_e32 v7, s3, v7
	ds_read_b32 v28, v28 offset:256
	ds_read_b32 v7, v7 offset:512
	s_waitcnt lgkmcnt(2)
	v_lshrrev_b32_e32 v23, 16, v9
	s_waitcnt lgkmcnt(1)
	v_mul_f16_sdwa v29, v23, v28 dst_sel:DWORD dst_unused:UNUSED_PAD src0_sel:DWORD src1_sel:WORD_1
	v_fma_f16 v29, v9, v28, -v29
	v_mul_f16_sdwa v9, v9, v28 dst_sel:DWORD dst_unused:UNUSED_PAD src0_sel:DWORD src1_sel:WORD_1
	v_fmac_f16_e32 v9, v23, v28
	s_waitcnt lgkmcnt(0)
	v_mul_f16_sdwa v28, v29, v7 dst_sel:DWORD dst_unused:UNUSED_PAD src0_sel:DWORD src1_sel:WORD_1
	v_mul_f16_sdwa v23, v9, v7 dst_sel:DWORD dst_unused:UNUSED_PAD src0_sel:DWORD src1_sel:WORD_1
	v_fmac_f16_e32 v28, v7, v9
	v_fma_f16 v23, v7, v29, -v23
	v_mul_f16_e32 v7, v5, v28
	v_fma_f16 v7, v4, v23, -v7
	v_mul_f16_e32 v4, v4, v28
	v_fmac_f16_e32 v4, v5, v23
	v_lshlrev_b32_e32 v5, 16, v15
	v_or_b32_sdwa v5, v5, v14 dst_sel:DWORD dst_unused:UNUSED_PAD src0_sel:DWORD src1_sel:WORD_0
	buffer_store_dword v5, v2, s[4:7], s1 offen
	v_add_nc_u32_e32 v2, 11, v0
	v_lshlrev_b32_e32 v5, 16, v17
	v_mul_lo_u32 v2, s0, v2
	v_or_b32_sdwa v1, v5, v1 dst_sel:DWORD dst_unused:UNUSED_PAD src0_sel:DWORD src1_sel:WORD_0
	v_add_lshl_u32 v2, v3, v2, 2
	v_cndmask_b32_e32 v2, -1, v2, vcc_lo
	buffer_store_dword v1, v2, s[4:7], s1 offen
	v_add_nc_u32_e32 v1, 22, v0
	v_lshlrev_b32_e32 v2, 16, v20
	v_mul_lo_u32 v1, s0, v1
	v_or_b32_sdwa v2, v2, v19 dst_sel:DWORD dst_unused:UNUSED_PAD src0_sel:DWORD src1_sel:WORD_0
	v_add_lshl_u32 v1, v3, v1, 2
	v_cndmask_b32_e32 v1, -1, v1, vcc_lo
	;; [unrolled: 7-line block ×8, first 2 shown]
	buffer_store_dword v2, v1, s[4:7], s1 offen
	v_add_nc_u32_e32 v1, 0x63, v0
	v_add_nc_u32_e32 v0, 0x6e, v0
	v_lshlrev_b32_e32 v2, 16, v6
	v_mul_lo_u32 v1, s0, v1
	v_mul_lo_u32 v0, s0, v0
	v_or_b32_sdwa v2, v2, v11 dst_sel:DWORD dst_unused:UNUSED_PAD src0_sel:DWORD src1_sel:WORD_0
	v_add_lshl_u32 v1, v3, v1, 2
	v_add_lshl_u32 v0, v3, v0, 2
	v_cndmask_b32_e32 v1, -1, v1, vcc_lo
	v_cndmask_b32_e32 v0, -1, v0, vcc_lo
	buffer_store_dword v2, v1, s[4:7], s1 offen
	v_lshlrev_b32_e32 v1, 16, v4
	v_or_b32_sdwa v1, v1, v7 dst_sel:DWORD dst_unused:UNUSED_PAD src0_sel:DWORD src1_sel:WORD_0
	buffer_store_dword v1, v0, s[4:7], s1 offen
	s_endpgm
	.section	.rodata,"a",@progbits
	.p2align	6, 0x0
	.amdhsa_kernel fft_rtc_fwd_len121_factors_11_11_wgs_121_tpt_11_half_op_CI_CI_sbcc_twdbase6_3step_dirReg_intrinsicReadWrite
		.amdhsa_group_segment_fixed_size 0
		.amdhsa_private_segment_fixed_size 0
		.amdhsa_kernarg_size 112
		.amdhsa_user_sgpr_count 6
		.amdhsa_user_sgpr_private_segment_buffer 1
		.amdhsa_user_sgpr_dispatch_ptr 0
		.amdhsa_user_sgpr_queue_ptr 0
		.amdhsa_user_sgpr_kernarg_segment_ptr 1
		.amdhsa_user_sgpr_dispatch_id 0
		.amdhsa_user_sgpr_flat_scratch_init 0
		.amdhsa_user_sgpr_private_segment_size 0
		.amdhsa_wavefront_size32 1
		.amdhsa_uses_dynamic_stack 0
		.amdhsa_system_sgpr_private_segment_wavefront_offset 0
		.amdhsa_system_sgpr_workgroup_id_x 1
		.amdhsa_system_sgpr_workgroup_id_y 0
		.amdhsa_system_sgpr_workgroup_id_z 0
		.amdhsa_system_sgpr_workgroup_info 0
		.amdhsa_system_vgpr_workitem_id 0
		.amdhsa_next_free_vgpr 45
		.amdhsa_next_free_sgpr 53
		.amdhsa_reserve_vcc 1
		.amdhsa_reserve_flat_scratch 0
		.amdhsa_float_round_mode_32 0
		.amdhsa_float_round_mode_16_64 0
		.amdhsa_float_denorm_mode_32 3
		.amdhsa_float_denorm_mode_16_64 3
		.amdhsa_dx10_clamp 1
		.amdhsa_ieee_mode 1
		.amdhsa_fp16_overflow 0
		.amdhsa_workgroup_processor_mode 1
		.amdhsa_memory_ordered 1
		.amdhsa_forward_progress 0
		.amdhsa_shared_vgpr_count 0
		.amdhsa_exception_fp_ieee_invalid_op 0
		.amdhsa_exception_fp_denorm_src 0
		.amdhsa_exception_fp_ieee_div_zero 0
		.amdhsa_exception_fp_ieee_overflow 0
		.amdhsa_exception_fp_ieee_underflow 0
		.amdhsa_exception_fp_ieee_inexact 0
		.amdhsa_exception_int_div_zero 0
	.end_amdhsa_kernel
	.text
.Lfunc_end0:
	.size	fft_rtc_fwd_len121_factors_11_11_wgs_121_tpt_11_half_op_CI_CI_sbcc_twdbase6_3step_dirReg_intrinsicReadWrite, .Lfunc_end0-fft_rtc_fwd_len121_factors_11_11_wgs_121_tpt_11_half_op_CI_CI_sbcc_twdbase6_3step_dirReg_intrinsicReadWrite
                                        ; -- End function
	.section	.AMDGPU.csdata,"",@progbits
; Kernel info:
; codeLenInByte = 9400
; NumSgprs: 55
; NumVgprs: 45
; ScratchSize: 0
; MemoryBound: 0
; FloatMode: 240
; IeeeMode: 1
; LDSByteSize: 0 bytes/workgroup (compile time only)
; SGPRBlocks: 6
; VGPRBlocks: 5
; NumSGPRsForWavesPerEU: 55
; NumVGPRsForWavesPerEU: 45
; Occupancy: 16
; WaveLimiterHint : 0
; COMPUTE_PGM_RSRC2:SCRATCH_EN: 0
; COMPUTE_PGM_RSRC2:USER_SGPR: 6
; COMPUTE_PGM_RSRC2:TRAP_HANDLER: 0
; COMPUTE_PGM_RSRC2:TGID_X_EN: 1
; COMPUTE_PGM_RSRC2:TGID_Y_EN: 0
; COMPUTE_PGM_RSRC2:TGID_Z_EN: 0
; COMPUTE_PGM_RSRC2:TIDIG_COMP_CNT: 0
	.text
	.p2alignl 6, 3214868480
	.fill 48, 4, 3214868480
	.type	__hip_cuid_a5b29af6d1f8a848,@object ; @__hip_cuid_a5b29af6d1f8a848
	.section	.bss,"aw",@nobits
	.globl	__hip_cuid_a5b29af6d1f8a848
__hip_cuid_a5b29af6d1f8a848:
	.byte	0                               ; 0x0
	.size	__hip_cuid_a5b29af6d1f8a848, 1

	.ident	"AMD clang version 19.0.0git (https://github.com/RadeonOpenCompute/llvm-project roc-6.4.0 25133 c7fe45cf4b819c5991fe208aaa96edf142730f1d)"
	.section	".note.GNU-stack","",@progbits
	.addrsig
	.addrsig_sym __hip_cuid_a5b29af6d1f8a848
	.amdgpu_metadata
---
amdhsa.kernels:
  - .args:
      - .actual_access:  read_only
        .address_space:  global
        .offset:         0
        .size:           8
        .value_kind:     global_buffer
      - .address_space:  global
        .offset:         8
        .size:           8
        .value_kind:     global_buffer
      - .offset:         16
        .size:           8
        .value_kind:     by_value
      - .actual_access:  read_only
        .address_space:  global
        .offset:         24
        .size:           8
        .value_kind:     global_buffer
      - .actual_access:  read_only
        .address_space:  global
        .offset:         32
        .size:           8
        .value_kind:     global_buffer
      - .actual_access:  read_only
        .address_space:  global
        .offset:         40
        .size:           8
        .value_kind:     global_buffer
      - .offset:         48
        .size:           8
        .value_kind:     by_value
      - .actual_access:  read_only
        .address_space:  global
        .offset:         56
        .size:           8
        .value_kind:     global_buffer
      - .actual_access:  read_only
        .address_space:  global
        .offset:         64
        .size:           8
        .value_kind:     global_buffer
      - .offset:         72
        .size:           4
        .value_kind:     by_value
      - .actual_access:  read_only
        .address_space:  global
        .offset:         80
        .size:           8
        .value_kind:     global_buffer
      - .actual_access:  read_only
        .address_space:  global
        .offset:         88
        .size:           8
        .value_kind:     global_buffer
      - .address_space:  global
        .offset:         96
        .size:           8
        .value_kind:     global_buffer
      - .address_space:  global
        .offset:         104
        .size:           8
        .value_kind:     global_buffer
    .group_segment_fixed_size: 0
    .kernarg_segment_align: 8
    .kernarg_segment_size: 112
    .language:       OpenCL C
    .language_version:
      - 2
      - 0
    .max_flat_workgroup_size: 121
    .name:           fft_rtc_fwd_len121_factors_11_11_wgs_121_tpt_11_half_op_CI_CI_sbcc_twdbase6_3step_dirReg_intrinsicReadWrite
    .private_segment_fixed_size: 0
    .sgpr_count:     55
    .sgpr_spill_count: 0
    .symbol:         fft_rtc_fwd_len121_factors_11_11_wgs_121_tpt_11_half_op_CI_CI_sbcc_twdbase6_3step_dirReg_intrinsicReadWrite.kd
    .uniform_work_group_size: 1
    .uses_dynamic_stack: false
    .vgpr_count:     45
    .vgpr_spill_count: 0
    .wavefront_size: 32
    .workgroup_processor_mode: 1
amdhsa.target:   amdgcn-amd-amdhsa--gfx1030
amdhsa.version:
  - 1
  - 2
...

	.end_amdgpu_metadata
